;; amdgpu-corpus repo=ROCm/bitsandbytes kind=harvested arch=n/a opt=n/a
	.text
	.amdgcn_target "amdgcn-amd-amdhsa--gfx1100"
	.amdhsa_code_object_version 6
	.protected	_Z5kfuncIhLi0EEvPT_S1_S0_l ; -- Begin function _Z5kfuncIhLi0EEvPT_S1_S0_l
	.globl	_Z5kfuncIhLi0EEvPT_S1_S0_l
	.p2align	8
	.type	_Z5kfuncIhLi0EEvPT_S1_S0_l,@function
_Z5kfuncIhLi0EEvPT_S1_S0_l:             ; @_Z5kfuncIhLi0EEvPT_S1_S0_l
; %bb.0:
	s_clause 0x1
	s_load_b32 s6, s[0:1], 0x2c
	s_load_b64 s[2:3], s[0:1], 0x18
	s_add_u32 s4, s0, 32
	s_addc_u32 s5, s1, 0
	s_mov_b32 s7, exec_lo
	s_waitcnt lgkmcnt(0)
	s_and_b32 s6, s6, 0xffff
	s_delay_alu instid0(SALU_CYCLE_1) | instskip(SKIP_1) | instid1(VALU_DEP_1)
	v_mad_u64_u32 v[1:2], null, s15, s6, v[0:1]
	v_mov_b32_e32 v2, 0
	v_cmpx_gt_i64_e64 s[2:3], v[1:2]
	s_cbranch_execz .LBB7_3
; %bb.1:
	s_load_b32 s7, s[0:1], 0x10
	s_load_b32 s4, s[4:5], 0x0
	s_load_b64 s[0:1], s[0:1], 0x0
	s_mov_b32 s5, 0
	s_waitcnt lgkmcnt(0)
	v_mov_b32_e32 v0, s7
	s_mul_i32 s4, s4, s6
.LBB7_2:                                ; =>This Inner Loop Header: Depth=1
	v_add_co_u32 v3, vcc_lo, s0, v1
	v_add_co_ci_u32_e32 v4, vcc_lo, s1, v2, vcc_lo
	v_add_co_u32 v1, vcc_lo, v1, s4
	v_add_co_ci_u32_e32 v2, vcc_lo, 0, v2, vcc_lo
	global_store_b8 v[3:4], v0, off
	v_cmp_le_i64_e32 vcc_lo, s[2:3], v[1:2]
	s_or_b32 s5, vcc_lo, s5
	s_delay_alu instid0(SALU_CYCLE_1)
	s_and_not1_b32 exec_lo, exec_lo, s5
	s_cbranch_execnz .LBB7_2
.LBB7_3:
	s_nop 0
	s_sendmsg sendmsg(MSG_DEALLOC_VGPRS)
	s_endpgm
	.section	.rodata,"a",@progbits
	.p2align	6, 0x0
	.amdhsa_kernel _Z5kfuncIhLi0EEvPT_S1_S0_l
		.amdhsa_group_segment_fixed_size 0
		.amdhsa_private_segment_fixed_size 0
		.amdhsa_kernarg_size 288
		.amdhsa_user_sgpr_count 15
		.amdhsa_user_sgpr_dispatch_ptr 0
		.amdhsa_user_sgpr_queue_ptr 0
		.amdhsa_user_sgpr_kernarg_segment_ptr 1
		.amdhsa_user_sgpr_dispatch_id 0
		.amdhsa_user_sgpr_private_segment_size 0
		.amdhsa_wavefront_size32 1
		.amdhsa_uses_dynamic_stack 0
		.amdhsa_enable_private_segment 0
		.amdhsa_system_sgpr_workgroup_id_x 1
		.amdhsa_system_sgpr_workgroup_id_y 0
		.amdhsa_system_sgpr_workgroup_id_z 0
		.amdhsa_system_sgpr_workgroup_info 0
		.amdhsa_system_vgpr_workitem_id 0
		.amdhsa_next_free_vgpr 5
		.amdhsa_next_free_sgpr 16
		.amdhsa_reserve_vcc 1
		.amdhsa_float_round_mode_32 0
		.amdhsa_float_round_mode_16_64 0
		.amdhsa_float_denorm_mode_32 3
		.amdhsa_float_denorm_mode_16_64 3
		.amdhsa_dx10_clamp 1
		.amdhsa_ieee_mode 1
		.amdhsa_fp16_overflow 0
		.amdhsa_workgroup_processor_mode 1
		.amdhsa_memory_ordered 1
		.amdhsa_forward_progress 0
		.amdhsa_shared_vgpr_count 0
		.amdhsa_exception_fp_ieee_invalid_op 0
		.amdhsa_exception_fp_denorm_src 0
		.amdhsa_exception_fp_ieee_div_zero 0
		.amdhsa_exception_fp_ieee_overflow 0
		.amdhsa_exception_fp_ieee_underflow 0
		.amdhsa_exception_fp_ieee_inexact 0
		.amdhsa_exception_int_div_zero 0
	.end_amdhsa_kernel
	.section	.text._Z5kfuncIhLi0EEvPT_S1_S0_l,"axG",@progbits,_Z5kfuncIhLi0EEvPT_S1_S0_l,comdat
.Lfunc_end7:
	.size	_Z5kfuncIhLi0EEvPT_S1_S0_l, .Lfunc_end7-_Z5kfuncIhLi0EEvPT_S1_S0_l
                                        ; -- End function
	.section	.AMDGPU.csdata,"",@progbits
; Kernel info:
; codeLenInByte = 176
; NumSgprs: 18
; NumVgprs: 5
; ScratchSize: 0
; MemoryBound: 0
; FloatMode: 240
; IeeeMode: 1
; LDSByteSize: 0 bytes/workgroup (compile time only)
; SGPRBlocks: 2
; VGPRBlocks: 0
; NumSGPRsForWavesPerEU: 18
; NumVGPRsForWavesPerEU: 5
; Occupancy: 16
; WaveLimiterHint : 0
; COMPUTE_PGM_RSRC2:SCRATCH_EN: 0
; COMPUTE_PGM_RSRC2:USER_SGPR: 15
; COMPUTE_PGM_RSRC2:TRAP_HANDLER: 0
; COMPUTE_PGM_RSRC2:TGID_X_EN: 1
; COMPUTE_PGM_RSRC2:TGID_Y_EN: 0
; COMPUTE_PGM_RSRC2:TGID_Z_EN: 0
; COMPUTE_PGM_RSRC2:TIDIG_COMP_CNT: 0
	.section	.text._Z5kfuncIfLi1EEvPT_S1_S0_l,"axG",@progbits,_Z5kfuncIfLi1EEvPT_S1_S0_l,comdat
